;; amdgpu-corpus repo=ROCm/rocFFT kind=compiled arch=gfx950 opt=O3
	.text
	.amdgcn_target "amdgcn-amd-amdhsa--gfx950"
	.amdhsa_code_object_version 6
	.protected	fft_rtc_back_len112_factors_4_7_4_wgs_448_tpt_28_half_op_CI_CI_sbrc_xy_z_aligned_dirReg ; -- Begin function fft_rtc_back_len112_factors_4_7_4_wgs_448_tpt_28_half_op_CI_CI_sbrc_xy_z_aligned_dirReg
	.globl	fft_rtc_back_len112_factors_4_7_4_wgs_448_tpt_28_half_op_CI_CI_sbrc_xy_z_aligned_dirReg
	.p2align	8
	.type	fft_rtc_back_len112_factors_4_7_4_wgs_448_tpt_28_half_op_CI_CI_sbrc_xy_z_aligned_dirReg,@function
fft_rtc_back_len112_factors_4_7_4_wgs_448_tpt_28_half_op_CI_CI_sbrc_xy_z_aligned_dirReg: ; @fft_rtc_back_len112_factors_4_7_4_wgs_448_tpt_28_half_op_CI_CI_sbrc_xy_z_aligned_dirReg
; %bb.0:
	s_load_dwordx4 s[12:15], s[0:1], 0x10
	s_load_dwordx2 s[20:21], s[0:1], 0x20
	s_load_dwordx2 s[24:25], s[0:1], 0x58
	s_mov_b64 s[26:27], 0
	s_waitcnt lgkmcnt(0)
	s_load_dwordx4 s[8:11], s[12:13], 0x8
	s_load_dwordx4 s[16:19], s[14:15], 0x0
	s_load_dwordx2 s[22:23], s[14:15], 0x10
	s_waitcnt lgkmcnt(0)
	s_add_i32 s3, s10, -1
	s_lshr_b32 s3, s3, 4
	s_add_i32 s3, s3, 1
	s_mul_i32 s4, s3, s8
	v_cvt_f32_u32_e32 v1, s4
	s_sub_i32 s6, 0, s4
	s_mov_b32 s3, 0
	s_mov_b32 s5, s3
	v_rcp_iflag_f32_e32 v1, v1
	v_mov_b64_e32 v[2:3], s[8:9]
	v_mul_f32_e32 v1, 0x4f7ffffe, v1
	v_cvt_u32_f32_e32 v1, v1
	s_nop 0
	v_readfirstlane_b32 s7, v1
	s_mul_i32 s6, s6, s7
	s_mul_hi_u32 s6, s7, s6
	s_add_i32 s7, s7, s6
	s_mul_hi_u32 s6, s2, s7
	s_mul_i32 s7, s6, s4
	s_sub_i32 s7, s2, s7
	s_add_i32 s10, s6, 1
	s_sub_i32 s11, s7, s4
	s_cmp_ge_u32 s7, s4
	s_cselect_b32 s6, s10, s6
	s_cselect_b32 s7, s11, s7
	s_add_i32 s10, s6, 1
	s_cmp_ge_u32 s7, s4
	s_cselect_b32 s19, s10, s6
	s_mul_i32 s4, s19, s4
	v_cvt_f32_u32_e32 v1, s8
	s_sub_i32 s4, s2, s4
	v_cmp_lt_u64_e32 vcc, s[4:5], v[2:3]
	s_cbranch_vccnz .LBB0_2
; %bb.1:
	v_rcp_iflag_f32_e32 v2, v1
	s_sub_i32 s5, 0, s8
	v_mul_f32_e32 v2, 0x4f7ffffe, v2
	v_cvt_u32_f32_e32 v2, v2
	s_nop 0
	v_readfirstlane_b32 s6, v2
	s_mul_i32 s5, s5, s6
	s_mul_hi_u32 s5, s6, s5
	s_add_i32 s6, s6, s5
	s_mul_hi_u32 s5, s4, s6
	s_mul_i32 s7, s5, s8
	s_sub_i32 s4, s4, s7
	s_add_i32 s6, s5, 1
	s_sub_i32 s7, s4, s8
	s_cmp_ge_u32 s4, s8
	s_cselect_b32 s5, s6, s5
	s_cselect_b32 s4, s7, s4
	s_add_i32 s6, s5, 1
	s_cmp_ge_u32 s4, s8
	s_cselect_b32 s26, s6, s5
.LBB0_2:
	s_load_dwordx4 s[4:7], s[20:21], 0x0
	s_load_dwordx2 s[12:13], s[20:21], 0x10
	v_mov_b64_e32 v[2:3], s[8:9]
	v_cmp_lt_u64_e32 vcc, s[2:3], v[2:3]
	s_cbranch_vccnz .LBB0_4
; %bb.3:
	v_rcp_iflag_f32_e32 v1, v1
	s_sub_i32 s3, 0, s8
	v_mul_f32_e32 v1, 0x4f7ffffe, v1
	v_cvt_u32_f32_e32 v1, v1
	s_waitcnt lgkmcnt(0)
	v_readfirstlane_b32 s7, v1
	s_mul_i32 s3, s3, s7
	s_mul_hi_u32 s3, s7, s3
	s_add_i32 s7, s7, s3
	s_mul_hi_u32 s3, s2, s7
	s_mul_i32 s3, s3, s8
	s_sub_i32 s2, s2, s3
	s_sub_i32 s3, s2, s8
	s_cmp_ge_u32 s2, s8
	s_cselect_b32 s2, s3, s2
	s_sub_i32 s3, s2, s8
	s_cmp_ge_u32 s2, s8
	s_cselect_b32 s2, s3, s2
.LBB0_4:
	s_load_dwordx4 s[8:11], s[0:1], 0x0
	s_lshl_b32 s3, s26, 4
	s_waitcnt lgkmcnt(0)
	s_mul_i32 s7, s2, s18
	s_mul_i32 s13, s3, s22
	s_add_i32 s26, s7, s13
	s_lshl_b64 s[10:11], s[10:11], 3
	s_add_u32 s14, s14, s10
	s_addc_u32 s15, s15, s11
	s_load_dwordx2 s[14:15], s[14:15], 0x0
	v_mul_u32_u24_e32 v1, 0x24a, v0
	v_lshrrev_b32_e32 v12, 16, v1
	v_mul_lo_u16_e32 v1, 0x70, v12
	v_sub_u16_e32 v13, v0, v1
	s_waitcnt lgkmcnt(0)
	s_mul_i32 s7, s15, s19
	s_mul_hi_u32 s13, s14, s19
	s_add_i32 s15, s13, s7
	s_mul_i32 s14, s14, s19
	s_add_u32 s10, s20, s10
	s_addc_u32 s11, s21, s11
	s_lshl_b64 s[14:15], s[14:15], 2
	s_mov_b32 s27, 0
	v_mad_u64_u32 v[2:3], s[20:21], s16, v13, 0
	s_add_u32 s7, s24, s14
	v_mov_b32_e32 v4, v3
	s_addc_u32 s13, s25, s15
	s_lshl_b64 s[14:15], s[26:27], 2
	v_mad_u64_u32 v[4:5], s[16:17], s17, v13, v[4:5]
	s_add_u32 s14, s7, s14
	v_mov_b32_e32 v3, v4
	s_addc_u32 s15, s13, s15
	v_mul_lo_u32 v4, s22, v12
	v_mov_b32_e32 v5, 0
	v_lshl_add_u64 v[2:3], v[2:3], 2, s[14:15]
	s_lshl_b32 s7, s22, 2
	v_lshl_add_u64 v[6:7], v[4:5], 2, v[2:3]
	v_add_u32_e32 v4, s7, v4
	v_lshl_add_u64 v[8:9], v[4:5], 2, v[2:3]
	v_add_u32_e32 v4, s7, v4
	;; [unrolled: 2-line block ×3, first 2 shown]
	v_lshl_add_u64 v[2:3], v[4:5], 2, v[2:3]
	global_load_dword v4, v[6:7], off
	global_load_dword v5, v[8:9], off
	;; [unrolled: 1-line block ×4, first 2 shown]
	v_and_b32_e32 v1, 15, v0
	v_lshrrev_b32_e32 v6, 4, v0
	v_lshlrev_b32_e32 v2, 6, v6
	v_lshlrev_b32_e32 v8, 2, v1
	v_add3_u32 v7, 0, v2, v8
	v_lshlrev_b16_e32 v2, 4, v13
	v_lshlrev_b32_e32 v3, 2, v12
	v_or_b32_e32 v9, v2, v12
	v_lshlrev_b32_e32 v2, 2, v2
	v_lshl_add_u32 v9, v9, 2, 0
	v_add3_u32 v2, 0, v3, v2
	s_load_dwordx2 s[10:11], s[10:11], 0x0
	s_mov_b32 s7, 0xffff
	s_load_dwordx2 s[0:1], s[0:1], 0x60
	s_movk_i32 s13, 0xc0
	s_movk_i32 s14, 0x100
	v_cmp_gt_u32_e32 vcc, s14, v0
	s_waitcnt vmcnt(3)
	ds_write_b32 v9, v4
	s_waitcnt vmcnt(1)
	ds_write2_b32 v2, v5, v14 offset0:4 offset1:8
	s_waitcnt vmcnt(0)
	ds_write_b32 v2, v15 offset:48
	s_waitcnt lgkmcnt(0)
	s_barrier
	ds_read2st64_b32 v[2:3], v7 offset1:7
	ds_read2st64_b32 v[4:5], v7 offset0:14 offset1:21
	v_mad_u32_u24 v9, v6, s13, v7
	s_waitcnt lgkmcnt(0)
	s_barrier
	v_pk_add_f16 v10, v2, v4 neg_lo:[0,1] neg_hi:[0,1]
	v_pk_add_f16 v4, v3, v5 neg_lo:[0,1] neg_hi:[0,1]
	v_pk_fma_f16 v2, v2, 2.0, v10 op_sel_hi:[1,0,1] neg_lo:[0,0,1] neg_hi:[0,0,1]
	v_pk_fma_f16 v3, v3, 2.0, v4 op_sel_hi:[1,0,1] neg_lo:[0,0,1] neg_hi:[0,0,1]
	v_pk_add_f16 v5, v10, v4 op_sel:[0,1] op_sel_hi:[1,0]
	v_pk_add_f16 v11, v10, v4 op_sel:[0,1] op_sel_hi:[1,0] neg_lo:[0,1] neg_hi:[0,1]
	v_pk_add_f16 v4, v2, v3 neg_lo:[0,1] neg_hi:[0,1]
	v_lshrrev_b32_e32 v12, 16, v2
	v_bfi_b32 v5, s7, v5, v11
	v_lshrrev_b32_e32 v11, 16, v4
	v_pk_fma_f16 v3, v10, 2.0, v5 op_sel_hi:[1,0,1] neg_lo:[0,0,1] neg_hi:[0,0,1]
	v_fma_f16 v10, v12, 2.0, -v11
	v_fma_f16 v2, v2, 2.0, -v4
	v_lshlrev_b32_e32 v10, 16, v10
	v_or_b32_sdwa v2, v10, v2 dst_sel:DWORD dst_unused:UNUSED_PAD src0_sel:DWORD src1_sel:WORD_0
	ds_write2_b32 v9, v4, v5 offset0:32 offset1:48
	ds_write2_b32 v9, v2, v3 offset1:16
	s_waitcnt lgkmcnt(0)
	s_barrier
	s_waitcnt lgkmcnt(0)
                                        ; implicit-def: $vgpr11
                                        ; implicit-def: $vgpr9
                                        ; implicit-def: $vgpr10
	s_and_saveexec_b64 s[14:15], vcc
	s_cbranch_execz .LBB0_6
; %bb.5:
	v_and_b32_e32 v2, 0xf0, v0
	v_lshlrev_b32_e32 v2, 2, v2
	v_add3_u32 v4, 0, v2, v8
	ds_read2st64_b32 v[10:11], v4 offset0:16 offset1:20
	ds_read2st64_b32 v[2:3], v4 offset1:4
	ds_read_b32 v12, v4 offset:6144
	ds_read2st64_b32 v[4:5], v4 offset0:8 offset1:12
	s_waitcnt lgkmcnt(3)
	v_alignbit_b32 v10, v10, v10, 16
	v_alignbit_b32 v9, v11, v11, 16
	s_waitcnt lgkmcnt(1)
	v_alignbit_b32 v11, v12, v12, 16
.LBB0_6:
	s_or_b64 exec, exec, s[14:15]
	s_waitcnt lgkmcnt(0)
	s_barrier
	s_and_saveexec_b64 s[14:15], vcc
	s_cbranch_execz .LBB0_8
; %bb.7:
	v_bfe_u32 v18, v0, 4, 2
	v_mul_u32_u24_e32 v12, 6, v18
	v_lshlrev_b32_e32 v19, 2, v12
	global_load_dwordx4 v[12:15], v19, s[8:9]
	global_load_dwordx2 v[16:17], v19, s[8:9] offset:16
	v_lshrrev_b32_e32 v19, 16, v3
	v_lshrrev_b32_e32 v21, 16, v10
	;; [unrolled: 1-line block ×6, first 2 shown]
	s_mov_b32 s7, 0xb574
	s_movk_i32 s16, 0x2b26
	s_mov_b32 s17, 0xbcab
	s_mov_b32 s18, 0xbb00
	;; [unrolled: 1-line block ×3, first 2 shown]
	s_movk_i32 s20, 0x3574
	s_waitcnt vmcnt(1)
	v_mul_f16_sdwa v25, v19, v12 dst_sel:DWORD dst_unused:UNUSED_PAD src0_sel:DWORD src1_sel:WORD_1
	s_waitcnt vmcnt(0)
	v_mul_f16_sdwa v26, v11, v17 dst_sel:DWORD dst_unused:UNUSED_PAD src0_sel:DWORD src1_sel:WORD_1
	v_mul_f16_sdwa v27, v10, v15 dst_sel:DWORD dst_unused:UNUSED_PAD src0_sel:DWORD src1_sel:WORD_1
	;; [unrolled: 1-line block ×11, first 2 shown]
	v_fma_f16 v3, v3, v12, v25
	v_fma_f16 v20, v20, v17, v26
	;; [unrolled: 1-line block ×6, first 2 shown]
	v_fma_f16 v14, v22, v14, -v33
	v_fma_f16 v10, v10, v15, -v34
	;; [unrolled: 1-line block ×6, first 2 shown]
	v_sub_f16_e32 v15, v3, v20
	v_sub_f16_e32 v16, v21, v5
	v_sub_f16_e32 v17, v4, v24
	v_add_f16_e32 v22, v14, v10
	v_add_f16_e32 v23, v13, v9
	;; [unrolled: 1-line block ×4, first 2 shown]
	v_sub_f16_e32 v10, v10, v14
	v_sub_f16_e32 v9, v13, v9
	v_add_f16_e32 v19, v12, v11
	v_add_f16_e32 v5, v5, v21
	v_sub_f16_e32 v11, v12, v11
	v_sub_f16_e32 v13, v16, v17
	v_add_f16_e32 v26, v4, v3
	v_sub_f16_e32 v28, v10, v9
	v_sub_f16_e32 v12, v15, v16
	v_add_f16_e32 v14, v16, v17
	v_sub_f16_e32 v16, v19, v22
	v_add_f16_e32 v21, v23, v19
	v_sub_f16_e32 v24, v3, v5
	v_sub_f16_e32 v25, v5, v4
	;; [unrolled: 1-line block ×3, first 2 shown]
	v_mul_f16_e32 v13, 0x3846, v13
	v_add_f16_e32 v5, v5, v26
	v_mul_f16_e32 v26, 0x3846, v28
	v_sub_f16_e32 v20, v22, v23
	v_sub_f16_e32 v17, v17, v15
	v_add_f16_e32 v14, v14, v15
	v_mul_f16_e32 v15, 0x3a52, v16
	v_add_f16_e32 v21, v22, v21
	v_mul_f16_e32 v22, 0x3a52, v24
	v_fma_f16 v29, v12, s7, v13
	v_fma_f16 v31, v27, s7, v26
	v_sub_f16_e32 v19, v23, v19
	s_mov_b32 s7, 0xb9e0
	v_sub_f16_e32 v3, v4, v3
	v_add_f16_e32 v10, v10, v9
	v_mul_f16_e32 v16, 0x2b26, v20
	v_fma_f16 v20, v20, s16, v15
	v_add_f16_sdwa v30, v21, v2 dst_sel:DWORD dst_unused:UNUSED_PAD src0_sel:DWORD src1_sel:WORD_1
	v_fma_f16 v15, v19, s7, -v15
	v_fma_f16 v4, v3, s7, -v22
	v_sub_f16_e32 v9, v9, v11
	s_movk_i32 s7, 0x39e0
	v_add_f16_e32 v10, v10, v11
	v_mul_f16_e32 v28, 0xbb00, v17
	v_fma_f16 v21, v21, s17, v30
	v_mul_f16_e32 v11, 0xbb00, v9
	v_fma_f16 v16, v19, s7, -v16
	v_fma_f16 v13, v17, s18, -v13
	;; [unrolled: 1-line block ×4, first 2 shown]
	v_add_f16_e32 v16, v16, v21
	v_fma_f16 v13, v14, s13, v13
	v_fma_f16 v9, v9, s18, -v26
	v_add_f16_e32 v2, v5, v2
	v_fma_f16 v28, v14, s13, v29
	v_fma_f16 v29, v10, s13, v31
	;; [unrolled: 1-line block ×4, first 2 shown]
	v_sub_f16_e32 v14, v16, v13
	v_fma_f16 v9, v10, s13, v9
	v_add_f16_e32 v10, v13, v16
	v_lshlrev_b32_e32 v13, 16, v30
	v_mul_f16_e32 v24, 0x2b26, v25
	v_fma_f16 v5, v5, s17, v2
	v_or_b32_e32 v2, v13, v2
	v_lshrrev_b32_e32 v13, 6, v0
	v_fma_f16 v25, v25, s16, v22
	v_fma_f16 v3, v3, s7, -v24
	v_mul_u32_u24_e32 v13, 28, v13
	v_add_f16_e32 v20, v20, v21
	v_add_f16_e32 v25, v25, v5
	;; [unrolled: 1-line block ×5, first 2 shown]
	v_or_b32_e32 v13, v13, v18
	v_add_f16_e32 v23, v12, v15
	v_sub_f16_e32 v22, v4, v11
	v_add_f16_e32 v5, v9, v3
	v_sub_f16_e32 v3, v3, v9
	v_sub_f16_e32 v9, v15, v12
	v_add_f16_e32 v4, v11, v4
	v_sub_f16_e32 v11, v20, v28
	v_add_f16_e32 v12, v29, v25
	v_lshlrev_b32_e32 v13, 6, v13
	v_add3_u32 v8, 0, v13, v8
	v_pack_b32_f16 v11, v12, v11
	ds_write2st64_b32 v8, v2, v11 offset1:1
	v_pack_b32_f16 v2, v4, v9
	v_pack_b32_f16 v3, v3, v10
	v_add_f16_e32 v31, v28, v20
	v_sub_f16_e32 v32, v25, v29
	ds_write2st64_b32 v8, v2, v3 offset0:2 offset1:3
	v_pack_b32_f16 v2, v5, v14
	v_pack_b32_f16 v3, v22, v23
	ds_write2st64_b32 v8, v2, v3 offset0:4 offset1:5
	v_pack_b32_f16 v2, v32, v31
	ds_write_b32 v8, v2 offset:1536
.LBB0_8:
	s_or_b64 exec, exec, s[14:15]
	v_mul_lo_u16_e32 v2, 37, v6
	v_lshrrev_b16_e32 v2, 10, v2
	v_mul_lo_u16_e32 v2, 28, v2
	v_sub_u16_e32 v5, v6, v2
	v_mov_b32_e32 v2, 3
	v_mul_u32_u24_sdwa v2, v5, v2 dst_sel:DWORD dst_unused:UNUSED_PAD src0_sel:BYTE_0 src1_sel:DWORD
	v_lshlrev_b32_e32 v2, 2, v2
	s_waitcnt lgkmcnt(0)
	s_barrier
	global_load_dwordx3 v[2:4], v2, s[8:9] offset:96
	s_mul_i32 s7, s11, s19
	s_mul_hi_u32 s11, s10, s19
	s_mul_i32 s8, s2, s12
	s_mul_i32 s2, s10, s19
	v_or_b32_e32 v12, s3, v1
	s_add_i32 s3, s11, s7
	s_movk_i32 s12, 0x125
	s_lshl_b64 s[2:3], s[2:3], 2
	s_mov_b32 s9, 0
	v_mad_u64_u32 v[10:11], s[10:11], s4, v12, 0
	v_mul_u32_u24_sdwa v13, v0, s12 dst_sel:DWORD dst_unused:UNUSED_PAD src0_sel:WORD_0 src1_sel:DWORD
	s_add_u32 s2, s0, s2
	v_mov_b32_e32 v1, 0
	v_mov_b32_e32 v0, v11
	v_lshrrev_b32_e32 v11, 17, v13
	s_addc_u32 s3, s1, s3
	s_lshl_b64 s[0:1], s[8:9], 2
	ds_read2st64_b32 v[8:9], v7 offset1:7
	ds_read2st64_b32 v[6:7], v7 offset0:14 offset1:21
	v_mad_u64_u32 v[12:13], s[4:5], s5, v12, v[0:1]
	v_mul_lo_u16_e32 v0, 0x70, v11
	s_add_u32 s0, s2, s0
	v_mov_b32_e32 v11, v12
	v_add_u32_sdwa v0, v0, v5 dst_sel:DWORD dst_unused:UNUSED_PAD src0_sel:DWORD src1_sel:BYTE_0
	s_addc_u32 s1, s3, s1
	s_mul_i32 s13, s6, 28
	v_mul_lo_u32 v0, v0, s6
	v_lshl_add_u64 v[10:11], v[10:11], 2, s[0:1]
	v_lshl_add_u64 v[12:13], v[0:1], 2, v[10:11]
	v_add_u32_e32 v0, s13, v0
	v_lshl_add_u64 v[14:15], v[0:1], 2, v[10:11]
	v_add_u32_e32 v0, s13, v0
	s_waitcnt lgkmcnt(1)
	v_lshrrev_b32_e32 v5, 16, v9
	s_waitcnt lgkmcnt(0)
	v_lshrrev_b32_e32 v18, 16, v6
	v_lshrrev_b32_e32 v19, 16, v7
	v_lshl_add_u64 v[16:17], v[0:1], 2, v[10:11]
	v_add_u32_e32 v0, s13, v0
	v_lshl_add_u64 v[0:1], v[0:1], 2, v[10:11]
	v_lshrrev_b32_e32 v20, 16, v8
	s_waitcnt vmcnt(0)
	v_mul_f16_sdwa v10, v2, v5 dst_sel:DWORD dst_unused:UNUSED_PAD src0_sel:WORD_1 src1_sel:DWORD
	v_mul_f16_sdwa v11, v2, v9 dst_sel:DWORD dst_unused:UNUSED_PAD src0_sel:WORD_1 src1_sel:DWORD
	;; [unrolled: 1-line block ×6, first 2 shown]
	v_fma_f16 v9, v2, v9, v10
	v_fma_f16 v2, v2, v5, -v11
	v_fma_f16 v5, v3, v6, v21
	v_fma_f16 v3, v3, v18, -v22
	v_fma_f16 v6, v4, v7, v23
	v_fma_f16 v4, v4, v19, -v24
	v_sub_f16_e32 v5, v8, v5
	v_sub_f16_e32 v3, v20, v3
	;; [unrolled: 1-line block ×4, first 2 shown]
	v_fma_f16 v7, v8, 2.0, -v5
	v_fma_f16 v8, v20, 2.0, -v3
	v_fma_f16 v9, v9, 2.0, -v6
	v_fma_f16 v2, v2, 2.0, -v4
	v_add_f16_e32 v4, v5, v4
	v_sub_f16_e32 v6, v3, v6
	v_sub_f16_e32 v9, v7, v9
	;; [unrolled: 1-line block ×3, first 2 shown]
	v_fma_f16 v5, v5, 2.0, -v4
	v_fma_f16 v3, v3, 2.0, -v6
	v_pack_b32_f16 v4, v4, v6
	v_fma_f16 v6, v7, 2.0, -v9
	v_fma_f16 v7, v8, 2.0, -v2
	v_pack_b32_f16 v3, v5, v3
	v_lshlrev_b32_e32 v5, 16, v7
	v_or_b32_sdwa v5, v5, v6 dst_sel:DWORD dst_unused:UNUSED_PAD src0_sel:DWORD src1_sel:WORD_0
	v_pack_b32_f16 v2, v9, v2
	global_store_dword v[12:13], v5, off
	global_store_dword v[14:15], v3, off
	global_store_dword v[16:17], v2, off
	global_store_dword v[0:1], v4, off
	s_endpgm
	.section	.rodata,"a",@progbits
	.p2align	6, 0x0
	.amdhsa_kernel fft_rtc_back_len112_factors_4_7_4_wgs_448_tpt_28_half_op_CI_CI_sbrc_xy_z_aligned_dirReg
		.amdhsa_group_segment_fixed_size 0
		.amdhsa_private_segment_fixed_size 0
		.amdhsa_kernarg_size 104
		.amdhsa_user_sgpr_count 2
		.amdhsa_user_sgpr_dispatch_ptr 0
		.amdhsa_user_sgpr_queue_ptr 0
		.amdhsa_user_sgpr_kernarg_segment_ptr 1
		.amdhsa_user_sgpr_dispatch_id 0
		.amdhsa_user_sgpr_kernarg_preload_length 0
		.amdhsa_user_sgpr_kernarg_preload_offset 0
		.amdhsa_user_sgpr_private_segment_size 0
		.amdhsa_uses_dynamic_stack 0
		.amdhsa_enable_private_segment 0
		.amdhsa_system_sgpr_workgroup_id_x 1
		.amdhsa_system_sgpr_workgroup_id_y 0
		.amdhsa_system_sgpr_workgroup_id_z 0
		.amdhsa_system_sgpr_workgroup_info 0
		.amdhsa_system_vgpr_workitem_id 0
		.amdhsa_next_free_vgpr 37
		.amdhsa_next_free_sgpr 28
		.amdhsa_accum_offset 40
		.amdhsa_reserve_vcc 1
		.amdhsa_float_round_mode_32 0
		.amdhsa_float_round_mode_16_64 0
		.amdhsa_float_denorm_mode_32 3
		.amdhsa_float_denorm_mode_16_64 3
		.amdhsa_dx10_clamp 1
		.amdhsa_ieee_mode 1
		.amdhsa_fp16_overflow 0
		.amdhsa_tg_split 0
		.amdhsa_exception_fp_ieee_invalid_op 0
		.amdhsa_exception_fp_denorm_src 0
		.amdhsa_exception_fp_ieee_div_zero 0
		.amdhsa_exception_fp_ieee_overflow 0
		.amdhsa_exception_fp_ieee_underflow 0
		.amdhsa_exception_fp_ieee_inexact 0
		.amdhsa_exception_int_div_zero 0
	.end_amdhsa_kernel
	.text
.Lfunc_end0:
	.size	fft_rtc_back_len112_factors_4_7_4_wgs_448_tpt_28_half_op_CI_CI_sbrc_xy_z_aligned_dirReg, .Lfunc_end0-fft_rtc_back_len112_factors_4_7_4_wgs_448_tpt_28_half_op_CI_CI_sbrc_xy_z_aligned_dirReg
                                        ; -- End function
	.section	.AMDGPU.csdata,"",@progbits
; Kernel info:
; codeLenInByte = 2444
; NumSgprs: 34
; NumVgprs: 37
; NumAgprs: 0
; TotalNumVgprs: 37
; ScratchSize: 0
; MemoryBound: 0
; FloatMode: 240
; IeeeMode: 1
; LDSByteSize: 0 bytes/workgroup (compile time only)
; SGPRBlocks: 4
; VGPRBlocks: 4
; NumSGPRsForWavesPerEU: 34
; NumVGPRsForWavesPerEU: 37
; AccumOffset: 40
; Occupancy: 7
; WaveLimiterHint : 1
; COMPUTE_PGM_RSRC2:SCRATCH_EN: 0
; COMPUTE_PGM_RSRC2:USER_SGPR: 2
; COMPUTE_PGM_RSRC2:TRAP_HANDLER: 0
; COMPUTE_PGM_RSRC2:TGID_X_EN: 1
; COMPUTE_PGM_RSRC2:TGID_Y_EN: 0
; COMPUTE_PGM_RSRC2:TGID_Z_EN: 0
; COMPUTE_PGM_RSRC2:TIDIG_COMP_CNT: 0
; COMPUTE_PGM_RSRC3_GFX90A:ACCUM_OFFSET: 9
; COMPUTE_PGM_RSRC3_GFX90A:TG_SPLIT: 0
	.text
	.p2alignl 6, 3212836864
	.fill 256, 4, 3212836864
	.type	__hip_cuid_6439553006ef498a,@object ; @__hip_cuid_6439553006ef498a
	.section	.bss,"aw",@nobits
	.globl	__hip_cuid_6439553006ef498a
__hip_cuid_6439553006ef498a:
	.byte	0                               ; 0x0
	.size	__hip_cuid_6439553006ef498a, 1

	.ident	"AMD clang version 19.0.0git (https://github.com/RadeonOpenCompute/llvm-project roc-6.4.0 25133 c7fe45cf4b819c5991fe208aaa96edf142730f1d)"
	.section	".note.GNU-stack","",@progbits
	.addrsig
	.addrsig_sym __hip_cuid_6439553006ef498a
	.amdgpu_metadata
---
amdhsa.kernels:
  - .agpr_count:     0
    .args:
      - .actual_access:  read_only
        .address_space:  global
        .offset:         0
        .size:           8
        .value_kind:     global_buffer
      - .offset:         8
        .size:           8
        .value_kind:     by_value
      - .actual_access:  read_only
        .address_space:  global
        .offset:         16
        .size:           8
        .value_kind:     global_buffer
      - .actual_access:  read_only
        .address_space:  global
        .offset:         24
        .size:           8
        .value_kind:     global_buffer
      - .actual_access:  read_only
        .address_space:  global
        .offset:         32
        .size:           8
        .value_kind:     global_buffer
      - .offset:         40
        .size:           8
        .value_kind:     by_value
      - .actual_access:  read_only
        .address_space:  global
        .offset:         48
        .size:           8
        .value_kind:     global_buffer
      - .actual_access:  read_only
        .address_space:  global
        .offset:         56
        .size:           8
        .value_kind:     global_buffer
      - .offset:         64
        .size:           4
        .value_kind:     by_value
      - .actual_access:  read_only
        .address_space:  global
        .offset:         72
        .size:           8
        .value_kind:     global_buffer
      - .actual_access:  read_only
        .address_space:  global
        .offset:         80
        .size:           8
        .value_kind:     global_buffer
      - .actual_access:  read_only
        .address_space:  global
        .offset:         88
        .size:           8
        .value_kind:     global_buffer
      - .actual_access:  write_only
        .address_space:  global
        .offset:         96
        .size:           8
        .value_kind:     global_buffer
    .group_segment_fixed_size: 0
    .kernarg_segment_align: 8
    .kernarg_segment_size: 104
    .language:       OpenCL C
    .language_version:
      - 2
      - 0
    .max_flat_workgroup_size: 448
    .name:           fft_rtc_back_len112_factors_4_7_4_wgs_448_tpt_28_half_op_CI_CI_sbrc_xy_z_aligned_dirReg
    .private_segment_fixed_size: 0
    .sgpr_count:     34
    .sgpr_spill_count: 0
    .symbol:         fft_rtc_back_len112_factors_4_7_4_wgs_448_tpt_28_half_op_CI_CI_sbrc_xy_z_aligned_dirReg.kd
    .uniform_work_group_size: 1
    .uses_dynamic_stack: false
    .vgpr_count:     37
    .vgpr_spill_count: 0
    .wavefront_size: 64
amdhsa.target:   amdgcn-amd-amdhsa--gfx950
amdhsa.version:
  - 1
  - 2
...

	.end_amdgpu_metadata
